;; amdgpu-corpus repo=zjin-lcf/HeCBench kind=compiled arch=gfx1250 opt=O3
	.amdgcn_target "amdgcn-amd-amdhsa--gfx1250"
	.amdhsa_code_object_version 6
	.text
	.protected	_Z11lombscargleiiPKfS0_S0_Pff ; -- Begin function _Z11lombscargleiiPKfS0_S0_Pff
	.globl	_Z11lombscargleiiPKfS0_S0_Pff
	.p2align	8
	.type	_Z11lombscargleiiPKfS0_S0_Pff,@function
_Z11lombscargleiiPKfS0_S0_Pff:          ; @_Z11lombscargleiiPKfS0_S0_Pff
; %bb.0:
	s_clause 0x1
	s_load_b32 s4, s[0:1], 0x3c
	s_load_b64 s[2:3], s[0:1], 0x0
	s_bfe_u32 s5, ttmp6, 0x4000c
	s_and_b32 s6, ttmp6, 15
	s_add_co_i32 s5, s5, 1
	s_getreg_b32 s7, hwreg(HW_REG_IB_STS2, 6, 4)
	s_mul_i32 s5, ttmp9, s5
	s_mov_b32 s18, 0
	s_add_co_i32 s6, s6, s5
	s_wait_kmcnt 0x0
	s_and_b32 s14, s4, 0xffff
	s_cmp_eq_u32 s7, 0
	s_cselect_b32 s4, ttmp9, s6
	s_delay_alu instid0(SALU_CYCLE_1) | instskip(SKIP_1) | instid1(VALU_DEP_1)
	v_mad_u32 v0, s4, s14, v0
	s_mov_b32 s4, exec_lo
	v_cmpx_gt_i32_e64 s3, v0
	s_cbranch_execz .LBB0_14
; %bb.1:
	s_add_nc_u64 s[12:13], s[0:1], 48
	v_dual_mov_b32 v3, 0 :: v_dual_mov_b32 v10, 0x4016cbe4
	s_load_b32 s24, s[12:13], 0x0
	s_clause 0x1
	s_load_b256 s[4:11], s[0:1], 0x8
	s_load_b32 s19, s[0:1], 0x28
	s_cmp_gt_i32 s2, 0
	s_mov_b32 s20, 0x7fffff
	s_wait_xcnt 0x0
	s_mov_b64 s[12:13], 0xfe5163ab
	s_mov_b32 s21, 0xb94c1982
	s_cselect_b32 s22, -1, 0
	s_mov_b32 s23, 0x37d75334
	s_mov_b32 s25, 0x3b2d2a58
	s_wait_kmcnt 0x0
	s_mul_i32 s24, s24, s14
	s_branch .LBB0_3
.LBB0_2:                                ;   in Loop: Header=BB0_3 Depth=1
	s_or_b32 exec_lo, exec_lo, s0
	s_delay_alu instid0(VALU_DEP_1) | instskip(SKIP_2) | instid1(VALU_DEP_3)
	v_dual_mul_f32 v14, v2, v2 :: v_dual_bitop2_b32 v17, 1, v13 bitop3:0x40
	v_dual_mov_b32 v18, v7 :: v_dual_lshlrev_b32 v13, 30, v13
	v_mov_b32_e32 v19, v6
	v_fmaak_f32 v15, s21, v14, 0x3c0881c4
	s_delay_alu instid0(VALU_DEP_4) | instskip(NEXT) | instid1(VALU_DEP_4)
	v_cmp_eq_u32_e32 vcc_lo, 0, v17
	v_and_b32_e32 v13, 0x80000000, v13
	s_delay_alu instid0(VALU_DEP_3) | instskip(NEXT) | instid1(VALU_DEP_1)
	v_fmaak_f32 v15, v14, v15, 0xbe2aaa9d
	v_dual_fmaak_f32 v16, s23, v14, 0xbab64f3b :: v_dual_mul_f32 v15, v14, v15
	s_delay_alu instid0(VALU_DEP_1) | instskip(NEXT) | instid1(VALU_DEP_2)
	v_fmaak_f32 v16, v14, v16, 0x3d2aabf7
	v_fmac_f32_e32 v2, v2, v15
	s_delay_alu instid0(VALU_DEP_2) | instskip(NEXT) | instid1(VALU_DEP_1)
	v_fmaak_f32 v16, v14, v16, 0xbf000004
	v_fma_f32 v14, v14, v16, 1.0
	s_delay_alu instid0(VALU_DEP_1) | instskip(NEXT) | instid1(VALU_DEP_1)
	v_cndmask_b32_e32 v15, v14, v2, vcc_lo
	v_xor3_b32 v12, v12, v11, v15
	v_mov_b32_e32 v15, v4
	s_delay_alu instid0(VALU_DEP_2) | instskip(SKIP_1) | instid1(VALU_DEP_1)
	v_xor_b32_e32 v12, v12, v13
	v_xor_b32_e32 v2, 0x80000000, v2
	v_cndmask_b32_e32 v2, v2, v14, vcc_lo
	v_cmp_class_f32_e64 vcc_lo, v11, 0x1f8
	s_delay_alu instid0(VALU_DEP_2) | instskip(SKIP_1) | instid1(VALU_DEP_2)
	v_dual_mov_b32 v14, v9 :: v_dual_bitop2_b32 v2, v2, v13 bitop3:0x14
	v_cndmask_b32_e32 v13, 0x7fc00000, v12, vcc_lo
	v_cndmask_b32_e32 v12, 0x7fc00000, v2, vcc_lo
	s_delay_alu instid0(VALU_DEP_1) | instskip(SKIP_1) | instid1(VALU_DEP_2)
	v_dual_mov_b32 v2, v13 :: v_dual_add_f32 v17, v12, v12
	v_mov_b32_e32 v16, v12
	v_pk_mul_f32 v[18:19], v[18:19], v[2:3] op_sel_hi:[1,0]
	s_delay_alu instid0(VALU_DEP_2) | instskip(NEXT) | instid1(VALU_DEP_2)
	v_pk_mul_f32 v[16:17], v[16:17], v[12:13]
	v_pk_fma_f32 v[20:21], v[6:7], v[12:13], v[18:19] op_sel_hi:[1,0,1]
	v_pk_fma_f32 v[6:7], v[6:7], v[12:13], v[18:19] op_sel_hi:[1,0,1] neg_lo:[0,0,1] neg_hi:[0,0,1]
	s_delay_alu instid0(VALU_DEP_3) | instskip(NEXT) | instid1(VALU_DEP_3)
	v_pk_mul_f32 v[14:15], v[14:15], v[16:17] op_sel:[0,1] op_sel_hi:[1,0]
	v_mov_b32_e32 v7, v21
	s_delay_alu instid0(VALU_DEP_2) | instskip(SKIP_2) | instid1(VALU_DEP_4)
	v_pk_fma_f32 v[22:23], v[8:9], v[16:17], v[14:15]
	v_pk_fma_f32 v[8:9], v[8:9], v[16:17], v[14:15] neg_lo:[0,0,1] neg_hi:[0,0,1]
	v_mul_f32_e32 v2, v13, v13
	v_pk_mul_f32 v[6:7], v[6:7], v[6:7]
	s_delay_alu instid0(VALU_DEP_4) | instskip(NEXT) | instid1(VALU_DEP_1)
	v_mov_b32_e32 v9, v23
	v_pk_fma_f32 v[4:5], v[4:5], v[2:3], v[8:9] op_sel_hi:[1,0,1]
	s_delay_alu instid0(VALU_DEP_1) | instskip(NEXT) | instid1(VALU_DEP_2)
	v_div_scale_f32 v2, null, v4, v4, v6
	v_div_scale_f32 v8, null, v5, v5, v7
	v_div_scale_f32 v14, vcc_lo, v6, v4, v6
	s_delay_alu instid0(VALU_DEP_3) | instskip(NEXT) | instid1(VALU_DEP_2)
	v_rcp_f32_e32 v9, v2
	v_rcp_f32_e32 v11, v8
	s_delay_alu instid0(TRANS32_DEP_2) | instskip(NEXT) | instid1(TRANS32_DEP_1)
	v_fma_f32 v12, -v2, v9, 1.0
	v_fma_f32 v13, -v8, v11, 1.0
	s_delay_alu instid0(VALU_DEP_2) | instskip(SKIP_1) | instid1(VALU_DEP_2)
	v_fmac_f32_e32 v9, v12, v9
	v_div_scale_f32 v12, s0, v7, v5, v7
	v_dual_fmac_f32 v11, v13, v11 :: v_dual_mul_f32 v13, v14, v9
	s_delay_alu instid0(VALU_DEP_1) | instskip(NEXT) | instid1(VALU_DEP_1)
	v_dual_mul_f32 v15, v12, v11 :: v_dual_fma_f32 v16, -v2, v13, v14
	v_fmac_f32_e32 v13, v16, v9
	s_delay_alu instid0(VALU_DEP_1) | instskip(NEXT) | instid1(VALU_DEP_1)
	v_dual_fma_f32 v17, -v8, v15, v12 :: v_dual_fma_f32 v2, -v2, v13, v14
	v_fmac_f32_e32 v15, v17, v11
	s_delay_alu instid0(VALU_DEP_2) | instskip(NEXT) | instid1(VALU_DEP_2)
	v_div_fmas_f32 v2, v2, v9, v13
	v_fma_f32 v8, -v8, v15, v12
	s_mov_b32 vcc_lo, s0
	s_delay_alu instid0(VALU_DEP_2) | instskip(NEXT) | instid1(VALU_DEP_2)
	v_div_fixup_f32 v2, v2, v4, v6
	v_div_fmas_f32 v8, v8, v11, v15
	s_delay_alu instid0(VALU_DEP_1) | instskip(NEXT) | instid1(VALU_DEP_1)
	v_div_fixup_f32 v4, v8, v5, v7
	v_add_f32_e32 v2, v4, v2
	v_lshl_add_u64 v[4:5], v[0:1], 2, s[10:11]
	s_delay_alu instid0(VALU_DEP_2) | instskip(NEXT) | instid1(VALU_DEP_1)
	v_dual_mul_f32 v1, 0.5, v2 :: v_dual_add_nc_u32 v0, s24, v0
	v_cmp_le_i32_e32 vcc_lo, s3, v0
	s_delay_alu instid0(VALU_DEP_2)
	v_mul_f32_e32 v1, s19, v1
	s_or_b32 s18, vcc_lo, s18
	global_store_b32 v[4:5], v1, off
	s_wait_xcnt 0x0
	s_and_not1_b32 exec_lo, exec_lo, s18
	s_cbranch_execz .LBB0_14
.LBB0_3:                                ; =>This Loop Header: Depth=1
                                        ;     Child Loop BB0_6 Depth 2
	global_load_b32 v11, v0, s[8:9] scale_offset
	v_dual_mov_b32 v9, v3 :: v_dual_mov_b32 v8, v3
	v_dual_mov_b32 v5, v3 :: v_dual_mov_b32 v4, v3
	;; [unrolled: 1-line block ×3, first 2 shown]
	s_and_not1_b32 vcc_lo, exec_lo, s22
	s_cbranch_vccnz .LBB0_10
; %bb.4:                                ;   in Loop: Header=BB0_3 Depth=1
	v_mov_b32_e32 v6, 0
	s_mov_b64 s[14:15], s[6:7]
	s_mov_b64 s[16:17], s[4:5]
	s_mov_b32 s26, s2
	s_delay_alu instid0(VALU_DEP_1)
	v_dual_mov_b32 v7, v6 :: v_dual_mov_b32 v4, v6
	v_dual_mov_b32 v5, v6 :: v_dual_mov_b32 v8, v6
	v_mov_b32_e32 v9, v6
	s_branch .LBB0_6
.LBB0_5:                                ;   in Loop: Header=BB0_6 Depth=2
	s_or_b32 exec_lo, exec_lo, s0
	s_delay_alu instid0(VALU_DEP_2)
	v_mul_f32_e32 v14, v2, v2
	s_load_b32 s0, s[14:15], 0x0
	s_add_co_i32 s26, s26, -1
	s_wait_xcnt 0x0
	s_add_nc_u64 s[16:17], s[16:17], 4
	s_cmp_eq_u32 s26, 0
	v_fmaak_f32 v15, s21, v14, 0x3c0881c4
	s_wait_xcnt 0x0
	s_add_nc_u64 s[14:15], s[14:15], 4
	s_delay_alu instid0(VALU_DEP_1) | instskip(NEXT) | instid1(VALU_DEP_1)
	v_fmaak_f32 v15, v14, v15, 0xbe2aaa9d
	v_mul_f32_e32 v15, v14, v15
	s_delay_alu instid0(VALU_DEP_1) | instskip(SKIP_2) | instid1(VALU_DEP_2)
	v_fmac_f32_e32 v2, v2, v15
	v_fmaak_f32 v16, s23, v14, 0xbab64f3b
	v_dual_lshlrev_b32 v13, 30, v13 :: v_dual_bitop2_b32 v15, 1, v13 bitop3:0x40
	v_fmaak_f32 v16, v14, v16, 0x3d2aabf7
	s_delay_alu instid0(VALU_DEP_2) | instskip(NEXT) | instid1(VALU_DEP_3)
	v_cmp_eq_u32_e32 vcc_lo, 0, v15
	v_and_b32_e32 v13, 0x80000000, v13
	s_delay_alu instid0(VALU_DEP_3) | instskip(NEXT) | instid1(VALU_DEP_1)
	v_fmaak_f32 v16, v14, v16, 0xbf000004
	v_fma_f32 v14, v14, v16, 1.0
	v_xor_b32_e32 v16, 0x80000000, v2
	s_delay_alu instid0(VALU_DEP_2) | instskip(NEXT) | instid1(VALU_DEP_2)
	v_cndmask_b32_e32 v2, v14, v2, vcc_lo
	v_cndmask_b32_e32 v14, v16, v14, vcc_lo
	v_cmp_class_f32_e64 vcc_lo, v1, 0x1f8
	s_delay_alu instid0(VALU_DEP_3) | instskip(NEXT) | instid1(VALU_DEP_3)
	v_xor3_b32 v2, v12, v1, v2
	v_xor_b32_e32 v12, v14, v13
	s_delay_alu instid0(VALU_DEP_2) | instskip(NEXT) | instid1(VALU_DEP_2)
	v_xor_b32_e32 v2, v2, v13
	v_cndmask_b32_e32 v13, 0x7fc00000, v12, vcc_lo
	s_delay_alu instid0(VALU_DEP_2) | instskip(NEXT) | instid1(VALU_DEP_1)
	v_cndmask_b32_e32 v12, 0x7fc00000, v2, vcc_lo
	v_pk_mul_f32 v[14:15], v[12:13], v[12:13]
	s_wait_kmcnt 0x0
	v_pk_fma_f32 v[6:7], s[0:1], v[12:13], v[6:7] op_sel_hi:[0,1,1]
	v_pk_fma_f32 v[8:9], v[12:13], v[12:13], v[8:9] op_sel_hi:[0,1,1]
	s_delay_alu instid0(VALU_DEP_3)
	v_pk_add_f32 v[4:5], v[4:5], v[14:15] op_sel:[0,1] op_sel_hi:[1,0]
	s_cbranch_scc1 .LBB0_10
.LBB0_6:                                ;   Parent Loop BB0_3 Depth=1
                                        ; =>  This Inner Loop Header: Depth=2
	s_load_b32 s0, s[16:17], 0x0
                                        ; implicit-def: $vgpr13
                                        ; implicit-def: $vgpr2
	s_mov_b32 s1, exec_lo
	s_wait_loadcnt 0x0
	s_wait_kmcnt 0x0
	v_mul_f32_e32 v1, s0, v11
	s_delay_alu instid0(VALU_DEP_1)
	v_and_b32_e32 v12, 0x7fffffff, v1
	v_cmpx_ngt_f32_e64 0x48000000, |v1|
	s_xor_b32 s27, exec_lo, s1
	s_cbranch_execz .LBB0_8
; %bb.7:                                ;   in Loop: Header=BB0_6 Depth=2
	s_delay_alu instid0(VALU_DEP_2) | instskip(SKIP_1) | instid1(VALU_DEP_2)
	v_and_or_b32 v2, v12, s20, 0x800000
	v_dual_lshrrev_b32 v13, 23, v12 :: v_dual_mov_b32 v25, v3
	v_mul_u64_e32 v[14:15], s[12:13], v[2:3]
	v_mov_b32_e32 v17, v3
	s_delay_alu instid0(VALU_DEP_3) | instskip(NEXT) | instid1(VALU_DEP_1)
	v_add_nc_u32_e32 v13, 0xffffff88, v13
	v_cmp_lt_u32_e32 vcc_lo, 63, v13
	s_delay_alu instid0(VALU_DEP_4) | instskip(SKIP_1) | instid1(VALU_DEP_2)
	v_mov_b32_e32 v16, v15
	v_cndmask_b32_e64 v15, 0, 0xffffffc0, vcc_lo
	v_mad_nc_u64_u32 v[16:17], 0x3c439041, v2, v[16:17]
	s_delay_alu instid0(VALU_DEP_1) | instskip(NEXT) | instid1(VALU_DEP_1)
	v_dual_mov_b32 v19, v3 :: v_dual_mov_b32 v18, v17
	v_mad_nc_u64_u32 v[18:19], 0xdb629599, v2, v[18:19]
	s_delay_alu instid0(VALU_DEP_1) | instskip(NEXT) | instid1(VALU_DEP_2)
	v_dual_mov_b32 v21, v3 :: v_dual_mov_b32 v20, v19
	v_cndmask_b32_e32 v14, v18, v14, vcc_lo
	s_delay_alu instid0(VALU_DEP_2) | instskip(NEXT) | instid1(VALU_DEP_1)
	v_mad_nc_u64_u32 v[20:21], 0xf534ddc0, v2, v[20:21]
	v_dual_mov_b32 v23, v3 :: v_dual_mov_b32 v22, v21
	s_delay_alu instid0(VALU_DEP_1) | instskip(NEXT) | instid1(VALU_DEP_1)
	v_mad_nc_u64_u32 v[22:23], 0xfc2757d1, v2, v[22:23]
	v_dual_mov_b32 v24, v23 :: v_dual_cndmask_b32 v21, v22, v18
	s_delay_alu instid0(VALU_DEP_1) | instskip(SKIP_1) | instid1(VALU_DEP_2)
	v_mad_nc_u64_u32 v[24:25], 0x4e441529, v2, v[24:25]
	v_add_nc_u32_e32 v13, v15, v13
	v_dual_mov_b32 v27, v3 :: v_dual_mov_b32 v26, v25
	s_delay_alu instid0(VALU_DEP_2) | instskip(NEXT) | instid1(VALU_DEP_2)
	v_cmp_lt_u32_e64 s0, 31, v13
	v_mad_nc_u64_u32 v[26:27], 0xa2f9836e, v2, v[26:27]
	s_delay_alu instid0(VALU_DEP_2) | instskip(NEXT) | instid1(VALU_DEP_1)
	v_cndmask_b32_e64 v15, 0, 0xffffffe0, s0
	v_dual_cndmask_b32 v15, v24, v20 :: v_dual_add_nc_u32 v2, v15, v13
	s_delay_alu instid0(VALU_DEP_3) | instskip(NEXT) | instid1(VALU_DEP_2)
	v_cndmask_b32_e32 v17, v26, v22, vcc_lo
	v_cmp_lt_u32_e64 s1, 31, v2
	v_cndmask_b32_e32 v19, v27, v24, vcc_lo
	s_delay_alu instid0(VALU_DEP_2) | instskip(NEXT) | instid1(VALU_DEP_1)
	v_cndmask_b32_e64 v13, 0, 0xffffffe0, s1
	v_dual_cndmask_b32 v13, v20, v16 :: v_dual_add_nc_u32 v2, v13, v2
	s_delay_alu instid0(VALU_DEP_3) | instskip(NEXT) | instid1(VALU_DEP_2)
	v_dual_cndmask_b32 v16, v17, v15, s0 :: v_dual_cndmask_b32 v17, v19, v17, s0
	v_dual_cndmask_b32 v15, v15, v21, s0 :: v_dual_sub_nc_u32 v19, 32, v2
	s_delay_alu instid0(VALU_DEP_3) | instskip(SKIP_1) | instid1(VALU_DEP_3)
	v_cndmask_b32_e64 v20, v21, v13, s0
	v_cmp_eq_u32_e32 vcc_lo, 0, v2
	v_dual_cndmask_b32 v17, v17, v16, s1 :: v_dual_cndmask_b32 v16, v16, v15, s1
	s_delay_alu instid0(VALU_DEP_1) | instskip(NEXT) | instid1(VALU_DEP_1)
	v_alignbit_b32 v21, v17, v16, v19
	v_dual_cndmask_b32 v15, v15, v20, s1 :: v_dual_cndmask_b32 v2, v21, v17, vcc_lo
	s_delay_alu instid0(VALU_DEP_1) | instskip(NEXT) | instid1(VALU_DEP_1)
	v_alignbit_b32 v18, v16, v15, v19
	v_dual_cndmask_b32 v13, v13, v14, s0 :: v_dual_cndmask_b32 v14, v18, v16, vcc_lo
	s_delay_alu instid0(VALU_DEP_3) | instskip(NEXT) | instid1(VALU_DEP_2)
	v_bfe_u32 v16, v2, 29, 1
	v_cndmask_b32_e64 v13, v20, v13, s1
	s_delay_alu instid0(VALU_DEP_3) | instskip(NEXT) | instid1(VALU_DEP_3)
	v_alignbit_b32 v17, v2, v14, 30
	v_sub_nc_u32_e32 v18, 0, v16
	s_delay_alu instid0(VALU_DEP_3) | instskip(NEXT) | instid1(VALU_DEP_1)
	v_alignbit_b32 v19, v15, v13, v19
	v_dual_cndmask_b32 v15, v19, v15, vcc_lo :: v_dual_bitop2_b32 v17, v17, v18 bitop3:0x14
	s_delay_alu instid0(VALU_DEP_1) | instskip(NEXT) | instid1(VALU_DEP_2)
	v_clz_i32_u32_e32 v19, v17
	v_alignbit_b32 v14, v14, v15, 30
	v_alignbit_b32 v13, v15, v13, 30
	s_delay_alu instid0(VALU_DEP_3) | instskip(NEXT) | instid1(VALU_DEP_3)
	v_min_u32_e32 v19, 32, v19
	v_xor_b32_e32 v14, v14, v18
	s_delay_alu instid0(VALU_DEP_3) | instskip(NEXT) | instid1(VALU_DEP_3)
	v_xor_b32_e32 v13, v13, v18
	v_dual_lshrrev_b32 v18, 29, v2 :: v_dual_lshlrev_b32 v20, 23, v19
	v_sub_nc_u32_e32 v15, 31, v19
	s_delay_alu instid0(VALU_DEP_1) | instskip(NEXT) | instid1(VALU_DEP_4)
	v_alignbit_b32 v17, v17, v14, v15
	v_alignbit_b32 v13, v14, v13, v15
	s_delay_alu instid0(VALU_DEP_4) | instskip(NEXT) | instid1(VALU_DEP_2)
	v_lshlrev_b32_e32 v14, 31, v18
	v_alignbit_b32 v15, v17, v13, 9
	s_delay_alu instid0(VALU_DEP_2) | instskip(SKIP_1) | instid1(VALU_DEP_3)
	v_dual_lshrrev_b32 v17, 9, v17 :: v_dual_bitop2_b32 v18, 0.5, v14 bitop3:0x54
	v_or_b32_e32 v14, 0x33000000, v14
	v_clz_i32_u32_e32 v21, v15
	s_delay_alu instid0(VALU_DEP_3) | instskip(NEXT) | instid1(VALU_DEP_2)
	v_sub_nc_u32_e32 v18, v18, v20
	v_min_u32_e32 v20, 32, v21
	s_delay_alu instid0(VALU_DEP_1) | instskip(NEXT) | instid1(VALU_DEP_3)
	v_add_lshl_u32 v19, v20, v19, 23
	v_or_b32_e32 v17, v17, v18
	v_not_b32_e32 v18, v20
	s_delay_alu instid0(VALU_DEP_2) | instskip(NEXT) | instid1(VALU_DEP_2)
	v_dual_mul_f32 v21, 0x3fc90fda, v17 :: v_dual_sub_nc_u32 v14, v14, v19
	v_alignbit_b32 v13, v15, v13, v18
	s_delay_alu instid0(VALU_DEP_2) | instskip(NEXT) | instid1(VALU_DEP_2)
	v_fma_f32 v15, 0x3fc90fda, v17, -v21
	v_lshrrev_b32_e32 v13, 9, v13
	s_delay_alu instid0(VALU_DEP_2) | instskip(NEXT) | instid1(VALU_DEP_2)
	v_fmac_f32_e32 v15, 0x33a22168, v17
	v_or_b32_e32 v13, v14, v13
	s_delay_alu instid0(VALU_DEP_1) | instskip(NEXT) | instid1(VALU_DEP_1)
	v_fmac_f32_e32 v15, 0x3fc90fda, v13
	v_dual_add_f32 v2, v21, v15 :: v_dual_lshrrev_b32 v13, 30, v2
	s_delay_alu instid0(VALU_DEP_1)
	v_add_nc_u32_e32 v13, v16, v13
.LBB0_8:                                ;   in Loop: Header=BB0_6 Depth=2
	s_and_not1_saveexec_b32 s0, s27
	s_cbranch_execz .LBB0_5
; %bb.9:                                ;   in Loop: Header=BB0_6 Depth=2
	v_mul_f32_e64 v2, 0x3f22f983, |v1|
	s_delay_alu instid0(VALU_DEP_1) | instskip(NEXT) | instid1(VALU_DEP_1)
	v_rndne_f32_e32 v13, v2
	v_fma_f32 v2, 0xbfc90fda, v13, |v1|
	s_delay_alu instid0(VALU_DEP_1) | instskip(NEXT) | instid1(VALU_DEP_1)
	v_fmac_f32_e32 v2, 0xb3a22168, v13
	v_fmac_f32_e32 v2, 0xa7c234c4, v13
	v_cvt_i32_f32_e32 v13, v13
	s_branch .LBB0_5
.LBB0_10:                               ;   in Loop: Header=BB0_3 Depth=1
	s_delay_alu instid0(VALU_DEP_2) | instskip(NEXT) | instid1(VALU_DEP_2)
	v_dual_add_f32 v2, v9, v9 :: v_dual_ashrrev_i32 v1, 31, v0
	v_sub_f32_e32 v12, v4, v5
	s_delay_alu instid0(VALU_DEP_2) | instskip(NEXT) | instid1(VALU_DEP_2)
	v_cmp_class_f32_e64 s1, v2, 0x204
	v_max_num_f32_e64 v13, |v12|, |v2|
	v_min_num_f32_e64 v15, |v12|, |v2|
	s_delay_alu instid0(VALU_DEP_2) | instskip(SKIP_1) | instid1(VALU_DEP_3)
	v_frexp_mant_f32_e32 v14, v13
	v_frexp_exp_i32_f32_e32 v13, v13
	v_frexp_exp_i32_f32_e32 v16, v15
	v_frexp_mant_f32_e32 v15, v15
	s_delay_alu instid0(VALU_DEP_4) | instskip(SKIP_1) | instid1(TRANS32_DEP_1)
	v_rcp_f32_e32 v14, v14
	v_nop
	v_dual_mul_f32 v14, v15, v14 :: v_dual_sub_nc_u32 v13, v16, v13
	v_cmp_gt_f32_e64 vcc_lo, |v2|, |v12|
	v_cmp_gt_i32_e64 s0, 0, v12
	s_delay_alu instid0(VALU_DEP_3) | instskip(NEXT) | instid1(VALU_DEP_1)
	v_ldexp_f32 v13, v14, v13
	v_mul_f32_e32 v14, v13, v13
	s_delay_alu instid0(VALU_DEP_1) | instskip(NEXT) | instid1(VALU_DEP_1)
	v_fmaak_f32 v15, s25, v14, 0xbc7a590c
	v_fmaak_f32 v15, v14, v15, 0x3d29fb3f
	s_delay_alu instid0(VALU_DEP_1) | instskip(NEXT) | instid1(VALU_DEP_1)
	v_fmaak_f32 v15, v14, v15, 0xbd97d4d7
	v_fmaak_f32 v15, v14, v15, 0x3dd931b2
	;; [unrolled: 3-line block ×3, first 2 shown]
	s_delay_alu instid0(VALU_DEP_1) | instskip(NEXT) | instid1(VALU_DEP_1)
	v_fmaak_f32 v15, v14, v15, 0xbeaaaa62
	v_mul_f32_e32 v14, v14, v15
	v_cndmask_b32_e64 v15, 0, 0x40490fdb, s0
	v_cmp_class_f32_e64 s0, v12, 0x204
	s_delay_alu instid0(VALU_DEP_3) | instskip(NEXT) | instid1(VALU_DEP_1)
	v_fmac_f32_e32 v13, v13, v14
	v_sub_f32_e32 v14, 0x3fc90fdb, v13
	s_delay_alu instid0(VALU_DEP_1) | instskip(SKIP_1) | instid1(VALU_DEP_2)
	v_cndmask_b32_e32 v13, v13, v14, vcc_lo
	v_cmp_gt_f32_e32 vcc_lo, 0, v12
	v_sub_f32_e32 v14, 0x40490fdb, v13
	s_delay_alu instid0(VALU_DEP_1) | instskip(SKIP_2) | instid1(VALU_DEP_3)
	v_cndmask_b32_e32 v13, v13, v14, vcc_lo
	v_cndmask_b32_e32 v14, 0x3f490fdb, v10, vcc_lo
	v_cmp_eq_f32_e32 vcc_lo, 0, v2
	v_cndmask_b32_e32 v13, v13, v15, vcc_lo
	s_and_b32 vcc_lo, s0, s1
	s_mov_b32 s1, exec_lo
	s_delay_alu instid0(VALU_DEP_1) | instskip(SKIP_2) | instid1(VALU_DEP_2)
	v_cndmask_b32_e32 v13, v13, v14, vcc_lo
	v_cmp_o_f32_e32 vcc_lo, v12, v2
	s_wait_loadcnt 0x0
	v_dual_cndmask_b32 v12, 0x7fc00000, v13 :: v_dual_add_f32 v13, v11, v11
	s_delay_alu instid0(VALU_DEP_1) | instskip(NEXT) | instid1(VALU_DEP_1)
	v_bfi_b32 v2, 0x7fffffff, v12, v2
	v_div_scale_f32 v12, null, v13, v13, v2
	v_div_scale_f32 v16, vcc_lo, v2, v13, v2
	s_delay_alu instid0(VALU_DEP_2) | instskip(SKIP_1) | instid1(TRANS32_DEP_1)
	v_rcp_f32_e32 v14, v12
	v_nop
	v_fma_f32 v15, -v12, v14, 1.0
	s_delay_alu instid0(VALU_DEP_1) | instskip(NEXT) | instid1(VALU_DEP_1)
	v_fmac_f32_e32 v14, v15, v14
	v_mul_f32_e32 v15, v16, v14
	s_delay_alu instid0(VALU_DEP_1) | instskip(NEXT) | instid1(VALU_DEP_1)
	v_fma_f32 v17, -v12, v15, v16
	v_fmac_f32_e32 v15, v17, v14
	s_delay_alu instid0(VALU_DEP_1) | instskip(NEXT) | instid1(VALU_DEP_1)
	v_fma_f32 v12, -v12, v15, v16
	v_div_fmas_f32 v12, v12, v14, v15
	s_delay_alu instid0(VALU_DEP_1) | instskip(NEXT) | instid1(VALU_DEP_1)
	v_div_fixup_f32 v2, v12, v13, v2
                                        ; implicit-def: $vgpr13
	v_mul_f32_e32 v11, v11, v2
                                        ; implicit-def: $vgpr2
	s_delay_alu instid0(VALU_DEP_1)
	v_and_b32_e32 v12, 0x7fffffff, v11
	s_wait_xcnt 0x0
	v_cmpx_ngt_f32_e64 0x48000000, |v11|
	s_xor_b32 s14, exec_lo, s1
	s_cbranch_execz .LBB0_12
; %bb.11:                               ;   in Loop: Header=BB0_3 Depth=1
	v_and_or_b32 v2, v12, s20, 0x800000
	v_dual_lshrrev_b32 v13, 23, v12 :: v_dual_mov_b32 v25, v3
	s_delay_alu instid0(VALU_DEP_2) | instskip(SKIP_1) | instid1(VALU_DEP_3)
	v_mul_u64_e32 v[14:15], s[12:13], v[2:3]
	v_mov_b32_e32 v17, v3
	v_add_nc_u32_e32 v13, 0xffffff88, v13
	s_delay_alu instid0(VALU_DEP_1) | instskip(NEXT) | instid1(VALU_DEP_4)
	v_cmp_lt_u32_e32 vcc_lo, 63, v13
	v_mov_b32_e32 v16, v15
	v_cndmask_b32_e64 v15, 0, 0xffffffc0, vcc_lo
	s_delay_alu instid0(VALU_DEP_2) | instskip(NEXT) | instid1(VALU_DEP_1)
	v_mad_nc_u64_u32 v[16:17], 0x3c439041, v2, v[16:17]
	v_dual_mov_b32 v19, v3 :: v_dual_mov_b32 v18, v17
	s_delay_alu instid0(VALU_DEP_1) | instskip(NEXT) | instid1(VALU_DEP_1)
	v_mad_nc_u64_u32 v[18:19], 0xdb629599, v2, v[18:19]
	v_dual_mov_b32 v21, v3 :: v_dual_mov_b32 v20, v19
	s_delay_alu instid0(VALU_DEP_2) | instskip(NEXT) | instid1(VALU_DEP_2)
	v_cndmask_b32_e32 v14, v18, v14, vcc_lo
	v_mad_nc_u64_u32 v[20:21], 0xf534ddc0, v2, v[20:21]
	s_delay_alu instid0(VALU_DEP_1) | instskip(NEXT) | instid1(VALU_DEP_1)
	v_dual_mov_b32 v23, v3 :: v_dual_mov_b32 v22, v21
	v_mad_nc_u64_u32 v[22:23], 0xfc2757d1, v2, v[22:23]
	s_delay_alu instid0(VALU_DEP_1) | instskip(NEXT) | instid1(VALU_DEP_1)
	v_dual_mov_b32 v24, v23 :: v_dual_cndmask_b32 v21, v22, v18
	v_mad_nc_u64_u32 v[24:25], 0x4e441529, v2, v[24:25]
	v_add_nc_u32_e32 v13, v15, v13
	s_delay_alu instid0(VALU_DEP_2) | instskip(NEXT) | instid1(VALU_DEP_2)
	v_dual_mov_b32 v27, v3 :: v_dual_mov_b32 v26, v25
	v_cmp_lt_u32_e64 s0, 31, v13
	s_delay_alu instid0(VALU_DEP_2) | instskip(NEXT) | instid1(VALU_DEP_2)
	v_mad_nc_u64_u32 v[26:27], 0xa2f9836e, v2, v[26:27]
	v_cndmask_b32_e64 v15, 0, 0xffffffe0, s0
	s_delay_alu instid0(VALU_DEP_1) | instskip(NEXT) | instid1(VALU_DEP_3)
	v_dual_cndmask_b32 v15, v24, v20 :: v_dual_add_nc_u32 v2, v15, v13
	v_cndmask_b32_e32 v17, v26, v22, vcc_lo
	s_delay_alu instid0(VALU_DEP_2) | instskip(SKIP_1) | instid1(VALU_DEP_2)
	v_cmp_lt_u32_e64 s1, 31, v2
	v_cndmask_b32_e32 v19, v27, v24, vcc_lo
	v_cndmask_b32_e64 v13, 0, 0xffffffe0, s1
	s_delay_alu instid0(VALU_DEP_1) | instskip(NEXT) | instid1(VALU_DEP_3)
	v_dual_cndmask_b32 v13, v20, v16 :: v_dual_add_nc_u32 v2, v13, v2
	v_dual_cndmask_b32 v16, v17, v15, s0 :: v_dual_cndmask_b32 v17, v19, v17, s0
	s_delay_alu instid0(VALU_DEP_2) | instskip(NEXT) | instid1(VALU_DEP_3)
	v_dual_cndmask_b32 v15, v15, v21, s0 :: v_dual_sub_nc_u32 v19, 32, v2
	v_cndmask_b32_e64 v20, v21, v13, s0
	v_cmp_eq_u32_e32 vcc_lo, 0, v2
	s_delay_alu instid0(VALU_DEP_3) | instskip(NEXT) | instid1(VALU_DEP_1)
	v_dual_cndmask_b32 v17, v17, v16, s1 :: v_dual_cndmask_b32 v16, v16, v15, s1
	v_alignbit_b32 v21, v17, v16, v19
	s_delay_alu instid0(VALU_DEP_1) | instskip(NEXT) | instid1(VALU_DEP_1)
	v_dual_cndmask_b32 v15, v15, v20, s1 :: v_dual_cndmask_b32 v2, v21, v17, vcc_lo
	v_alignbit_b32 v18, v16, v15, v19
	s_delay_alu instid0(VALU_DEP_1) | instskip(NEXT) | instid1(VALU_DEP_3)
	v_dual_cndmask_b32 v13, v13, v14, s0 :: v_dual_cndmask_b32 v14, v18, v16, vcc_lo
	v_bfe_u32 v16, v2, 29, 1
	s_delay_alu instid0(VALU_DEP_2) | instskip(NEXT) | instid1(VALU_DEP_3)
	v_cndmask_b32_e64 v13, v20, v13, s1
	v_alignbit_b32 v17, v2, v14, 30
	s_delay_alu instid0(VALU_DEP_3) | instskip(NEXT) | instid1(VALU_DEP_3)
	v_sub_nc_u32_e32 v18, 0, v16
	v_alignbit_b32 v19, v15, v13, v19
	s_delay_alu instid0(VALU_DEP_1) | instskip(NEXT) | instid1(VALU_DEP_1)
	v_dual_cndmask_b32 v15, v19, v15, vcc_lo :: v_dual_bitop2_b32 v17, v17, v18 bitop3:0x14
	v_clz_i32_u32_e32 v19, v17
	s_delay_alu instid0(VALU_DEP_2) | instskip(SKIP_1) | instid1(VALU_DEP_3)
	v_alignbit_b32 v14, v14, v15, 30
	v_alignbit_b32 v13, v15, v13, 30
	v_min_u32_e32 v19, 32, v19
	s_delay_alu instid0(VALU_DEP_3) | instskip(NEXT) | instid1(VALU_DEP_3)
	v_xor_b32_e32 v14, v14, v18
	v_xor_b32_e32 v13, v13, v18
	s_delay_alu instid0(VALU_DEP_3) | instskip(SKIP_1) | instid1(VALU_DEP_1)
	v_dual_lshrrev_b32 v18, 29, v2 :: v_dual_lshlrev_b32 v20, 23, v19
	v_sub_nc_u32_e32 v15, 31, v19
	v_alignbit_b32 v17, v17, v14, v15
	s_delay_alu instid0(VALU_DEP_4) | instskip(NEXT) | instid1(VALU_DEP_4)
	v_alignbit_b32 v13, v14, v13, v15
	v_lshlrev_b32_e32 v14, 31, v18
	s_delay_alu instid0(VALU_DEP_2) | instskip(NEXT) | instid1(VALU_DEP_2)
	v_alignbit_b32 v15, v17, v13, 9
	v_dual_lshrrev_b32 v17, 9, v17 :: v_dual_bitop2_b32 v18, 0.5, v14 bitop3:0x54
	v_or_b32_e32 v14, 0x33000000, v14
	s_delay_alu instid0(VALU_DEP_3) | instskip(NEXT) | instid1(VALU_DEP_3)
	v_clz_i32_u32_e32 v21, v15
	v_sub_nc_u32_e32 v18, v18, v20
	s_delay_alu instid0(VALU_DEP_2) | instskip(NEXT) | instid1(VALU_DEP_1)
	v_min_u32_e32 v20, 32, v21
	v_add_lshl_u32 v19, v20, v19, 23
	s_delay_alu instid0(VALU_DEP_3) | instskip(SKIP_1) | instid1(VALU_DEP_2)
	v_or_b32_e32 v17, v17, v18
	v_not_b32_e32 v18, v20
	v_dual_mul_f32 v21, 0x3fc90fda, v17 :: v_dual_sub_nc_u32 v14, v14, v19
	s_delay_alu instid0(VALU_DEP_2) | instskip(NEXT) | instid1(VALU_DEP_2)
	v_alignbit_b32 v13, v15, v13, v18
	v_fma_f32 v15, 0x3fc90fda, v17, -v21
	s_delay_alu instid0(VALU_DEP_2) | instskip(NEXT) | instid1(VALU_DEP_2)
	v_lshrrev_b32_e32 v13, 9, v13
	v_fmac_f32_e32 v15, 0x33a22168, v17
	s_delay_alu instid0(VALU_DEP_2) | instskip(NEXT) | instid1(VALU_DEP_1)
	v_or_b32_e32 v13, v14, v13
	v_fmac_f32_e32 v15, 0x3fc90fda, v13
	s_delay_alu instid0(VALU_DEP_1) | instskip(NEXT) | instid1(VALU_DEP_1)
	v_dual_add_f32 v2, v21, v15 :: v_dual_lshrrev_b32 v13, 30, v2
	v_add_nc_u32_e32 v13, v16, v13
.LBB0_12:                               ;   in Loop: Header=BB0_3 Depth=1
	s_and_not1_saveexec_b32 s0, s14
	s_cbranch_execz .LBB0_2
; %bb.13:                               ;   in Loop: Header=BB0_3 Depth=1
	v_mul_f32_e64 v2, 0x3f22f983, |v11|
	s_delay_alu instid0(VALU_DEP_1) | instskip(NEXT) | instid1(VALU_DEP_1)
	v_rndne_f32_e32 v13, v2
	v_fma_f32 v2, 0xbfc90fda, v13, |v11|
	s_delay_alu instid0(VALU_DEP_1) | instskip(NEXT) | instid1(VALU_DEP_1)
	v_fmac_f32_e32 v2, 0xb3a22168, v13
	v_fmac_f32_e32 v2, 0xa7c234c4, v13
	v_cvt_i32_f32_e32 v13, v13
	s_branch .LBB0_2
.LBB0_14:
	s_endpgm
	.section	.rodata,"a",@progbits
	.p2align	6, 0x0
	.amdhsa_kernel _Z11lombscargleiiPKfS0_S0_Pff
		.amdhsa_group_segment_fixed_size 0
		.amdhsa_private_segment_fixed_size 0
		.amdhsa_kernarg_size 304
		.amdhsa_user_sgpr_count 2
		.amdhsa_user_sgpr_dispatch_ptr 0
		.amdhsa_user_sgpr_queue_ptr 0
		.amdhsa_user_sgpr_kernarg_segment_ptr 1
		.amdhsa_user_sgpr_dispatch_id 0
		.amdhsa_user_sgpr_kernarg_preload_length 0
		.amdhsa_user_sgpr_kernarg_preload_offset 0
		.amdhsa_user_sgpr_private_segment_size 0
		.amdhsa_wavefront_size32 1
		.amdhsa_uses_dynamic_stack 0
		.amdhsa_enable_private_segment 0
		.amdhsa_system_sgpr_workgroup_id_x 1
		.amdhsa_system_sgpr_workgroup_id_y 0
		.amdhsa_system_sgpr_workgroup_id_z 0
		.amdhsa_system_sgpr_workgroup_info 0
		.amdhsa_system_vgpr_workitem_id 0
		.amdhsa_next_free_vgpr 28
		.amdhsa_next_free_sgpr 28
		.amdhsa_named_barrier_count 0
		.amdhsa_reserve_vcc 1
		.amdhsa_float_round_mode_32 0
		.amdhsa_float_round_mode_16_64 0
		.amdhsa_float_denorm_mode_32 3
		.amdhsa_float_denorm_mode_16_64 3
		.amdhsa_fp16_overflow 0
		.amdhsa_memory_ordered 1
		.amdhsa_forward_progress 1
		.amdhsa_inst_pref_size 25
		.amdhsa_round_robin_scheduling 0
		.amdhsa_exception_fp_ieee_invalid_op 0
		.amdhsa_exception_fp_denorm_src 0
		.amdhsa_exception_fp_ieee_div_zero 0
		.amdhsa_exception_fp_ieee_overflow 0
		.amdhsa_exception_fp_ieee_underflow 0
		.amdhsa_exception_fp_ieee_inexact 0
		.amdhsa_exception_int_div_zero 0
	.end_amdhsa_kernel
	.text
.Lfunc_end0:
	.size	_Z11lombscargleiiPKfS0_S0_Pff, .Lfunc_end0-_Z11lombscargleiiPKfS0_S0_Pff
                                        ; -- End function
	.set _Z11lombscargleiiPKfS0_S0_Pff.num_vgpr, 28
	.set _Z11lombscargleiiPKfS0_S0_Pff.num_agpr, 0
	.set _Z11lombscargleiiPKfS0_S0_Pff.numbered_sgpr, 28
	.set _Z11lombscargleiiPKfS0_S0_Pff.num_named_barrier, 0
	.set _Z11lombscargleiiPKfS0_S0_Pff.private_seg_size, 0
	.set _Z11lombscargleiiPKfS0_S0_Pff.uses_vcc, 1
	.set _Z11lombscargleiiPKfS0_S0_Pff.uses_flat_scratch, 0
	.set _Z11lombscargleiiPKfS0_S0_Pff.has_dyn_sized_stack, 0
	.set _Z11lombscargleiiPKfS0_S0_Pff.has_recursion, 0
	.set _Z11lombscargleiiPKfS0_S0_Pff.has_indirect_call, 0
	.section	.AMDGPU.csdata,"",@progbits
; Kernel info:
; codeLenInByte = 3180
; TotalNumSgprs: 30
; NumVgprs: 28
; ScratchSize: 0
; MemoryBound: 0
; FloatMode: 240
; IeeeMode: 1
; LDSByteSize: 0 bytes/workgroup (compile time only)
; SGPRBlocks: 0
; VGPRBlocks: 1
; NumSGPRsForWavesPerEU: 30
; NumVGPRsForWavesPerEU: 28
; NamedBarCnt: 0
; Occupancy: 16
; WaveLimiterHint : 0
; COMPUTE_PGM_RSRC2:SCRATCH_EN: 0
; COMPUTE_PGM_RSRC2:USER_SGPR: 2
; COMPUTE_PGM_RSRC2:TRAP_HANDLER: 0
; COMPUTE_PGM_RSRC2:TGID_X_EN: 1
; COMPUTE_PGM_RSRC2:TGID_Y_EN: 0
; COMPUTE_PGM_RSRC2:TGID_Z_EN: 0
; COMPUTE_PGM_RSRC2:TIDIG_COMP_CNT: 0
	.text
	.p2alignl 7, 3214868480
	.fill 96, 4, 3214868480
	.section	.AMDGPU.gpr_maximums,"",@progbits
	.set amdgpu.max_num_vgpr, 0
	.set amdgpu.max_num_agpr, 0
	.set amdgpu.max_num_sgpr, 0
	.text
	.type	__hip_cuid_4c95dcf388c5cfb2,@object ; @__hip_cuid_4c95dcf388c5cfb2
	.section	.bss,"aw",@nobits
	.globl	__hip_cuid_4c95dcf388c5cfb2
__hip_cuid_4c95dcf388c5cfb2:
	.byte	0                               ; 0x0
	.size	__hip_cuid_4c95dcf388c5cfb2, 1

	.ident	"AMD clang version 22.0.0git (https://github.com/RadeonOpenCompute/llvm-project roc-7.2.4 26084 f58b06dce1f9c15707c5f808fd002e18c2accf7e)"
	.section	".note.GNU-stack","",@progbits
	.addrsig
	.addrsig_sym __hip_cuid_4c95dcf388c5cfb2
	.amdgpu_metadata
---
amdhsa.kernels:
  - .args:
      - .offset:         0
        .size:           4
        .value_kind:     by_value
      - .offset:         4
        .size:           4
        .value_kind:     by_value
      - .actual_access:  read_only
        .address_space:  global
        .offset:         8
        .size:           8
        .value_kind:     global_buffer
      - .actual_access:  read_only
        .address_space:  global
        .offset:         16
        .size:           8
        .value_kind:     global_buffer
      - .actual_access:  read_only
        .address_space:  global
        .offset:         24
        .size:           8
        .value_kind:     global_buffer
      - .actual_access:  write_only
        .address_space:  global
        .offset:         32
        .size:           8
        .value_kind:     global_buffer
      - .offset:         40
        .size:           4
        .value_kind:     by_value
      - .offset:         48
        .size:           4
        .value_kind:     hidden_block_count_x
      - .offset:         52
        .size:           4
        .value_kind:     hidden_block_count_y
      - .offset:         56
        .size:           4
        .value_kind:     hidden_block_count_z
      - .offset:         60
        .size:           2
        .value_kind:     hidden_group_size_x
      - .offset:         62
        .size:           2
        .value_kind:     hidden_group_size_y
      - .offset:         64
        .size:           2
        .value_kind:     hidden_group_size_z
      - .offset:         66
        .size:           2
        .value_kind:     hidden_remainder_x
      - .offset:         68
        .size:           2
        .value_kind:     hidden_remainder_y
      - .offset:         70
        .size:           2
        .value_kind:     hidden_remainder_z
      - .offset:         88
        .size:           8
        .value_kind:     hidden_global_offset_x
      - .offset:         96
        .size:           8
        .value_kind:     hidden_global_offset_y
      - .offset:         104
        .size:           8
        .value_kind:     hidden_global_offset_z
      - .offset:         112
        .size:           2
        .value_kind:     hidden_grid_dims
    .group_segment_fixed_size: 0
    .kernarg_segment_align: 8
    .kernarg_segment_size: 304
    .language:       OpenCL C
    .language_version:
      - 2
      - 0
    .max_flat_workgroup_size: 1024
    .name:           _Z11lombscargleiiPKfS0_S0_Pff
    .private_segment_fixed_size: 0
    .sgpr_count:     30
    .sgpr_spill_count: 0
    .symbol:         _Z11lombscargleiiPKfS0_S0_Pff.kd
    .uniform_work_group_size: 1
    .uses_dynamic_stack: false
    .vgpr_count:     28
    .vgpr_spill_count: 0
    .wavefront_size: 32
amdhsa.target:   amdgcn-amd-amdhsa--gfx1250
amdhsa.version:
  - 1
  - 2
...

	.end_amdgpu_metadata
